;; amdgpu-corpus repo=ROCm/rocFFT kind=compiled arch=gfx1030 opt=O3
	.text
	.amdgcn_target "amdgcn-amd-amdhsa--gfx1030"
	.amdhsa_code_object_version 6
	.protected	fft_rtc_fwd_len104_factors_13_8_wgs_64_tpt_8_halfLds_half_ip_CI_unitstride_sbrr_C2R_dirReg ; -- Begin function fft_rtc_fwd_len104_factors_13_8_wgs_64_tpt_8_halfLds_half_ip_CI_unitstride_sbrr_C2R_dirReg
	.globl	fft_rtc_fwd_len104_factors_13_8_wgs_64_tpt_8_halfLds_half_ip_CI_unitstride_sbrr_C2R_dirReg
	.p2align	8
	.type	fft_rtc_fwd_len104_factors_13_8_wgs_64_tpt_8_halfLds_half_ip_CI_unitstride_sbrr_C2R_dirReg,@function
fft_rtc_fwd_len104_factors_13_8_wgs_64_tpt_8_halfLds_half_ip_CI_unitstride_sbrr_C2R_dirReg: ; @fft_rtc_fwd_len104_factors_13_8_wgs_64_tpt_8_halfLds_half_ip_CI_unitstride_sbrr_C2R_dirReg
; %bb.0:
	s_clause 0x2
	s_load_dwordx4 s[8:11], s[4:5], 0x0
	s_load_dwordx2 s[2:3], s[4:5], 0x50
	s_load_dwordx2 s[12:13], s[4:5], 0x18
	v_lshrrev_b32_e32 v9, 3, v0
	v_mov_b32_e32 v3, 0
	v_mov_b32_e32 v1, 0
	;; [unrolled: 1-line block ×3, first 2 shown]
	v_lshl_or_b32 v5, s6, 3, v9
	v_mov_b32_e32 v6, v3
	s_waitcnt lgkmcnt(0)
	v_cmp_lt_u64_e64 s0, s[10:11], 2
	s_and_b32 vcc_lo, exec_lo, s0
	s_cbranch_vccnz .LBB0_8
; %bb.1:
	s_load_dwordx2 s[0:1], s[4:5], 0x10
	v_mov_b32_e32 v1, 0
	s_add_u32 s6, s12, 8
	v_mov_b32_e32 v2, 0
	s_addc_u32 s7, s13, 0
	s_mov_b64 s[16:17], 1
	s_waitcnt lgkmcnt(0)
	s_add_u32 s14, s0, 8
	s_addc_u32 s15, s1, 0
.LBB0_2:                                ; =>This Inner Loop Header: Depth=1
	s_load_dwordx2 s[18:19], s[14:15], 0x0
                                        ; implicit-def: $vgpr7_vgpr8
	s_mov_b32 s0, exec_lo
	s_waitcnt lgkmcnt(0)
	v_or_b32_e32 v4, s19, v6
	v_cmpx_ne_u64_e32 0, v[3:4]
	s_xor_b32 s1, exec_lo, s0
	s_cbranch_execz .LBB0_4
; %bb.3:                                ;   in Loop: Header=BB0_2 Depth=1
	v_cvt_f32_u32_e32 v4, s18
	v_cvt_f32_u32_e32 v7, s19
	s_sub_u32 s0, 0, s18
	s_subb_u32 s20, 0, s19
	v_fmac_f32_e32 v4, 0x4f800000, v7
	v_rcp_f32_e32 v4, v4
	v_mul_f32_e32 v4, 0x5f7ffffc, v4
	v_mul_f32_e32 v7, 0x2f800000, v4
	v_trunc_f32_e32 v7, v7
	v_fmac_f32_e32 v4, 0xcf800000, v7
	v_cvt_u32_f32_e32 v7, v7
	v_cvt_u32_f32_e32 v4, v4
	v_mul_lo_u32 v8, s0, v7
	v_mul_hi_u32 v10, s0, v4
	v_mul_lo_u32 v11, s20, v4
	v_add_nc_u32_e32 v8, v10, v8
	v_mul_lo_u32 v10, s0, v4
	v_add_nc_u32_e32 v8, v8, v11
	v_mul_hi_u32 v11, v4, v10
	v_mul_lo_u32 v12, v4, v8
	v_mul_hi_u32 v13, v4, v8
	v_mul_hi_u32 v14, v7, v10
	v_mul_lo_u32 v10, v7, v10
	v_mul_hi_u32 v15, v7, v8
	v_mul_lo_u32 v8, v7, v8
	v_add_co_u32 v11, vcc_lo, v11, v12
	v_add_co_ci_u32_e32 v12, vcc_lo, 0, v13, vcc_lo
	v_add_co_u32 v10, vcc_lo, v11, v10
	v_add_co_ci_u32_e32 v10, vcc_lo, v12, v14, vcc_lo
	v_add_co_ci_u32_e32 v11, vcc_lo, 0, v15, vcc_lo
	v_add_co_u32 v8, vcc_lo, v10, v8
	v_add_co_ci_u32_e32 v10, vcc_lo, 0, v11, vcc_lo
	v_add_co_u32 v4, vcc_lo, v4, v8
	v_add_co_ci_u32_e32 v7, vcc_lo, v7, v10, vcc_lo
	v_mul_hi_u32 v8, s0, v4
	v_mul_lo_u32 v11, s20, v4
	v_mul_lo_u32 v10, s0, v7
	v_add_nc_u32_e32 v8, v8, v10
	v_mul_lo_u32 v10, s0, v4
	v_add_nc_u32_e32 v8, v8, v11
	v_mul_hi_u32 v11, v4, v10
	v_mul_lo_u32 v12, v4, v8
	v_mul_hi_u32 v13, v4, v8
	v_mul_hi_u32 v14, v7, v10
	v_mul_lo_u32 v10, v7, v10
	v_mul_hi_u32 v15, v7, v8
	v_mul_lo_u32 v8, v7, v8
	v_add_co_u32 v11, vcc_lo, v11, v12
	v_add_co_ci_u32_e32 v12, vcc_lo, 0, v13, vcc_lo
	v_add_co_u32 v10, vcc_lo, v11, v10
	v_add_co_ci_u32_e32 v10, vcc_lo, v12, v14, vcc_lo
	v_add_co_ci_u32_e32 v11, vcc_lo, 0, v15, vcc_lo
	v_add_co_u32 v8, vcc_lo, v10, v8
	v_add_co_ci_u32_e32 v10, vcc_lo, 0, v11, vcc_lo
	v_add_co_u32 v4, vcc_lo, v4, v8
	v_add_co_ci_u32_e32 v12, vcc_lo, v7, v10, vcc_lo
	v_mul_hi_u32 v14, v5, v4
	v_mad_u64_u32 v[10:11], null, v6, v4, 0
	v_mad_u64_u32 v[7:8], null, v5, v12, 0
	;; [unrolled: 1-line block ×3, first 2 shown]
	v_add_co_u32 v4, vcc_lo, v14, v7
	v_add_co_ci_u32_e32 v7, vcc_lo, 0, v8, vcc_lo
	v_add_co_u32 v4, vcc_lo, v4, v10
	v_add_co_ci_u32_e32 v4, vcc_lo, v7, v11, vcc_lo
	v_add_co_ci_u32_e32 v7, vcc_lo, 0, v13, vcc_lo
	v_add_co_u32 v4, vcc_lo, v4, v12
	v_add_co_ci_u32_e32 v10, vcc_lo, 0, v7, vcc_lo
	v_mul_lo_u32 v11, s19, v4
	v_mad_u64_u32 v[7:8], null, s18, v4, 0
	v_mul_lo_u32 v12, s18, v10
	v_sub_co_u32 v7, vcc_lo, v5, v7
	v_add3_u32 v8, v8, v12, v11
	v_sub_nc_u32_e32 v11, v6, v8
	v_subrev_co_ci_u32_e64 v11, s0, s19, v11, vcc_lo
	v_add_co_u32 v12, s0, v4, 2
	v_add_co_ci_u32_e64 v13, s0, 0, v10, s0
	v_sub_co_u32 v14, s0, v7, s18
	v_sub_co_ci_u32_e32 v8, vcc_lo, v6, v8, vcc_lo
	v_subrev_co_ci_u32_e64 v11, s0, 0, v11, s0
	v_cmp_le_u32_e32 vcc_lo, s18, v14
	v_cmp_eq_u32_e64 s0, s19, v8
	v_cndmask_b32_e64 v14, 0, -1, vcc_lo
	v_cmp_le_u32_e32 vcc_lo, s19, v11
	v_cndmask_b32_e64 v15, 0, -1, vcc_lo
	v_cmp_le_u32_e32 vcc_lo, s18, v7
	;; [unrolled: 2-line block ×3, first 2 shown]
	v_cndmask_b32_e64 v16, 0, -1, vcc_lo
	v_cmp_eq_u32_e32 vcc_lo, s19, v11
	v_cndmask_b32_e64 v7, v16, v7, s0
	v_cndmask_b32_e32 v11, v15, v14, vcc_lo
	v_add_co_u32 v14, vcc_lo, v4, 1
	v_add_co_ci_u32_e32 v15, vcc_lo, 0, v10, vcc_lo
	v_cmp_ne_u32_e32 vcc_lo, 0, v11
	v_cndmask_b32_e32 v8, v15, v13, vcc_lo
	v_cndmask_b32_e32 v11, v14, v12, vcc_lo
	v_cmp_ne_u32_e32 vcc_lo, 0, v7
	v_cndmask_b32_e32 v8, v10, v8, vcc_lo
	v_cndmask_b32_e32 v7, v4, v11, vcc_lo
.LBB0_4:                                ;   in Loop: Header=BB0_2 Depth=1
	s_andn2_saveexec_b32 s0, s1
	s_cbranch_execz .LBB0_6
; %bb.5:                                ;   in Loop: Header=BB0_2 Depth=1
	v_cvt_f32_u32_e32 v4, s18
	s_sub_i32 s1, 0, s18
	v_rcp_iflag_f32_e32 v4, v4
	v_mul_f32_e32 v4, 0x4f7ffffe, v4
	v_cvt_u32_f32_e32 v4, v4
	v_mul_lo_u32 v7, s1, v4
	v_mul_hi_u32 v7, v4, v7
	v_add_nc_u32_e32 v4, v4, v7
	v_mul_hi_u32 v4, v5, v4
	v_mul_lo_u32 v7, v4, s18
	v_add_nc_u32_e32 v8, 1, v4
	v_sub_nc_u32_e32 v7, v5, v7
	v_subrev_nc_u32_e32 v10, s18, v7
	v_cmp_le_u32_e32 vcc_lo, s18, v7
	v_cndmask_b32_e32 v7, v7, v10, vcc_lo
	v_cndmask_b32_e32 v4, v4, v8, vcc_lo
	v_cmp_le_u32_e32 vcc_lo, s18, v7
	v_add_nc_u32_e32 v8, 1, v4
	v_cndmask_b32_e32 v7, v4, v8, vcc_lo
	v_mov_b32_e32 v8, v3
.LBB0_6:                                ;   in Loop: Header=BB0_2 Depth=1
	s_or_b32 exec_lo, exec_lo, s0
	s_load_dwordx2 s[0:1], s[6:7], 0x0
	v_mul_lo_u32 v4, v8, s18
	v_mul_lo_u32 v12, v7, s19
	v_mad_u64_u32 v[10:11], null, v7, s18, 0
	s_add_u32 s16, s16, 1
	s_addc_u32 s17, s17, 0
	s_add_u32 s6, s6, 8
	s_addc_u32 s7, s7, 0
	;; [unrolled: 2-line block ×3, first 2 shown]
	v_add3_u32 v4, v11, v12, v4
	v_sub_co_u32 v5, vcc_lo, v5, v10
	v_sub_co_ci_u32_e32 v4, vcc_lo, v6, v4, vcc_lo
	s_waitcnt lgkmcnt(0)
	v_mul_lo_u32 v6, s1, v5
	v_mul_lo_u32 v4, s0, v4
	v_mad_u64_u32 v[1:2], null, s0, v5, v[1:2]
	v_cmp_ge_u64_e64 s0, s[16:17], s[10:11]
	s_and_b32 vcc_lo, exec_lo, s0
	v_add3_u32 v2, v6, v2, v4
	s_cbranch_vccnz .LBB0_9
; %bb.7:                                ;   in Loop: Header=BB0_2 Depth=1
	v_mov_b32_e32 v5, v7
	v_mov_b32_e32 v6, v8
	s_branch .LBB0_2
.LBB0_8:
	v_mov_b32_e32 v8, v6
	v_mov_b32_e32 v7, v5
.LBB0_9:
	s_lshl_b64 s[0:1], s[10:11], 3
	v_and_b32_e32 v0, 7, v0
	s_add_u32 s0, s12, s0
	s_addc_u32 s1, s13, s1
	s_load_dwordx2 s[0:1], s[0:1], 0x0
	s_load_dwordx2 s[4:5], s[4:5], 0x20
	s_waitcnt lgkmcnt(0)
	v_mul_lo_u32 v4, s0, v8
	v_mul_lo_u32 v5, s1, v7
	v_mad_u64_u32 v[2:3], null, s0, v7, v[1:2]
	v_mul_u32_u24_e32 v1, 0x69, v9
	v_cmp_gt_u64_e32 vcc_lo, s[4:5], v[7:8]
	v_lshlrev_b32_e32 v6, 2, v1
	v_add3_u32 v3, v5, v3, v4
	v_lshlrev_b64 v[2:3], 2, v[2:3]
	s_and_saveexec_b32 s1, vcc_lo
	s_cbranch_execz .LBB0_13
; %bb.10:
	v_lshlrev_b32_e32 v9, 2, v0
	v_add_co_u32 v4, s0, s2, v2
	v_add_co_ci_u32_e64 v5, s0, s3, v3, s0
	s_mov_b32 s4, exec_lo
	v_add_co_u32 v7, s0, v4, v9
	v_add_co_ci_u32_e64 v8, s0, 0, v5, s0
	s_clause 0xc
	global_load_dword v10, v[7:8], off
	global_load_dword v11, v[7:8], off offset:32
	global_load_dword v12, v[7:8], off offset:64
	;; [unrolled: 1-line block ×12, first 2 shown]
	v_add3_u32 v7, 0, v6, v9
	s_waitcnt vmcnt(11)
	ds_write2_b32 v7, v10, v11 offset1:8
	s_waitcnt vmcnt(9)
	ds_write2_b32 v7, v12, v13 offset0:16 offset1:24
	s_waitcnt vmcnt(7)
	ds_write2_b32 v7, v14, v15 offset0:32 offset1:40
	;; [unrolled: 2-line block ×5, first 2 shown]
	s_waitcnt vmcnt(0)
	ds_write_b32 v7, v8 offset:384
	v_cmpx_eq_u32_e32 7, v0
	s_cbranch_execz .LBB0_12
; %bb.11:
	global_load_dword v4, v[4:5], off offset:416
	v_mov_b32_e32 v0, 7
	s_waitcnt vmcnt(0)
	ds_write_b32 v7, v4 offset:388
.LBB0_12:
	s_or_b32 exec_lo, exec_lo, s4
.LBB0_13:
	s_or_b32 exec_lo, exec_lo, s1
	v_lshl_add_u32 v18, v1, 2, 0
	v_lshlrev_b32_e32 v7, 2, v0
	s_waitcnt lgkmcnt(0)
	s_barrier
	buffer_gl0_inv
	v_cmp_ne_u32_e64 s0, 0, v0
	v_add_nc_u32_e32 v10, v18, v7
	v_sub_nc_u32_e32 v8, v18, v7
                                        ; implicit-def: $vgpr4_vgpr5
	ds_read_u16 v1, v10
	ds_read_u16 v12, v8 offset:416
	s_waitcnt lgkmcnt(0)
	v_add_f16_e32 v11, v12, v1
	v_sub_f16_e32 v9, v1, v12
	s_and_saveexec_b32 s1, s0
	s_xor_b32 s0, exec_lo, s1
	s_cbranch_execz .LBB0_15
; %bb.14:
	global_load_dword v4, v7, s[8:9] offset:364
	ds_read_u16 v5, v8 offset:418
	ds_read_u16 v9, v10 offset:2
	v_add_f16_e32 v11, v12, v1
	v_sub_f16_e32 v12, v1, v12
	s_waitcnt lgkmcnt(0)
	v_add_f16_e32 v13, v5, v9
	v_sub_f16_e32 v5, v9, v5
	s_waitcnt vmcnt(0)
	v_lshrrev_b32_e32 v1, 16, v4
	v_fma_f16 v14, -v12, v1, v11
	v_fma_f16 v15, v13, v1, -v5
	v_fma_f16 v9, v13, v1, v5
	v_fma_f16 v11, v12, v1, v11
	v_mov_b32_e32 v1, 0
	v_fmac_f16_e32 v14, v4, v13
	v_fmac_f16_e32 v15, v12, v4
	;; [unrolled: 1-line block ×3, first 2 shown]
	v_fma_f16 v11, -v4, v13, v11
	v_mov_b32_e32 v5, v1
	v_mov_b32_e32 v4, v0
	v_pack_b32_f16 v12, v14, v15
	ds_write_b32 v8, v12 offset:416
.LBB0_15:
	s_andn2_saveexec_b32 s0, s0
	s_cbranch_execz .LBB0_17
; %bb.16:
	ds_read_b32 v1, v18 offset:208
	v_mov_b32_e32 v4, 0
	v_mov_b32_e32 v5, 0
	s_waitcnt lgkmcnt(0)
	v_pk_mul_f16 v1, 0xc0004000, v1
	ds_write_b32 v18, v1 offset:208
.LBB0_17:
	s_or_b32 exec_lo, exec_lo, s0
	v_lshlrev_b64 v[4:5], 2, v[4:5]
	s_add_u32 s0, s8, 0x16c
	s_addc_u32 s1, s9, 0
	v_perm_b32 v9, v9, v11, 0x5040100
	v_add_co_u32 v4, s0, s0, v4
	v_add_co_ci_u32_e64 v5, s0, s1, v5, s0
	s_mov_b32 s1, exec_lo
	s_clause 0x4
	global_load_dword v1, v[4:5], off offset:32
	global_load_dword v12, v[4:5], off offset:64
	;; [unrolled: 1-line block ×5, first 2 shown]
	ds_write_b32 v10, v9
	ds_read_b32 v9, v10 offset:32
	ds_read_b32 v11, v8 offset:384
	s_waitcnt lgkmcnt(0)
	v_add_f16_e32 v16, v9, v11
	v_add_f16_sdwa v17, v11, v9 dst_sel:DWORD dst_unused:UNUSED_PAD src0_sel:WORD_1 src1_sel:WORD_1
	v_sub_f16_e32 v19, v9, v11
	v_sub_f16_sdwa v9, v9, v11 dst_sel:DWORD dst_unused:UNUSED_PAD src0_sel:WORD_1 src1_sel:WORD_1
	s_waitcnt vmcnt(4)
	v_lshrrev_b32_e32 v20, 16, v1
	v_fma_f16 v11, v19, v20, v16
	v_fma_f16 v21, v17, v20, v9
	v_fma_f16 v16, -v19, v20, v16
	v_fma_f16 v9, v17, v20, -v9
	v_fma_f16 v11, -v1, v17, v11
	v_fmac_f16_e32 v21, v19, v1
	v_fmac_f16_e32 v16, v1, v17
	;; [unrolled: 1-line block ×3, first 2 shown]
	v_pack_b32_f16 v1, v11, v21
	s_waitcnt vmcnt(3)
	v_lshrrev_b32_e32 v11, 16, v12
	v_pack_b32_f16 v9, v16, v9
	ds_write_b32 v10, v1 offset:32
	ds_write_b32 v8, v9 offset:384
	ds_read_b32 v1, v10 offset:64
	ds_read_b32 v9, v8 offset:352
	s_waitcnt lgkmcnt(0)
	v_add_f16_e32 v16, v1, v9
	v_add_f16_sdwa v17, v9, v1 dst_sel:DWORD dst_unused:UNUSED_PAD src0_sel:WORD_1 src1_sel:WORD_1
	v_sub_f16_e32 v19, v1, v9
	v_sub_f16_sdwa v1, v1, v9 dst_sel:DWORD dst_unused:UNUSED_PAD src0_sel:WORD_1 src1_sel:WORD_1
	v_fma_f16 v9, v19, v11, v16
	v_fma_f16 v20, v17, v11, v1
	v_fma_f16 v16, -v19, v11, v16
	v_fma_f16 v1, v17, v11, -v1
	s_waitcnt vmcnt(2)
	v_lshrrev_b32_e32 v11, 16, v13
	v_fma_f16 v9, -v12, v17, v9
	v_fmac_f16_e32 v20, v19, v12
	v_fmac_f16_e32 v16, v12, v17
	v_fmac_f16_e32 v1, v19, v12
	v_pack_b32_f16 v9, v9, v20
	v_pack_b32_f16 v1, v16, v1
	ds_write_b32 v10, v9 offset:64
	ds_write_b32 v8, v1 offset:352
	ds_read_b32 v1, v10 offset:96
	ds_read_b32 v9, v8 offset:320
	s_waitcnt lgkmcnt(0)
	v_add_f16_e32 v12, v1, v9
	v_add_f16_sdwa v16, v9, v1 dst_sel:DWORD dst_unused:UNUSED_PAD src0_sel:WORD_1 src1_sel:WORD_1
	v_sub_f16_e32 v17, v1, v9
	v_sub_f16_sdwa v1, v1, v9 dst_sel:DWORD dst_unused:UNUSED_PAD src0_sel:WORD_1 src1_sel:WORD_1
	v_fma_f16 v9, v17, v11, v12
	v_fma_f16 v19, v16, v11, v1
	v_fma_f16 v12, -v17, v11, v12
	v_fma_f16 v1, v16, v11, -v1
	s_waitcnt vmcnt(1)
	v_lshrrev_b32_e32 v11, 16, v14
	v_fma_f16 v9, -v13, v16, v9
	v_fmac_f16_e32 v19, v17, v13
	v_fmac_f16_e32 v12, v13, v16
	v_fmac_f16_e32 v1, v17, v13
	v_pack_b32_f16 v9, v9, v19
	;; [unrolled: 21-line block ×3, first 2 shown]
	v_pack_b32_f16 v1, v12, v1
	ds_write_b32 v10, v9 offset:128
	ds_write_b32 v8, v1 offset:288
	ds_read_b32 v1, v10 offset:160
	ds_read_b32 v9, v8 offset:256
	s_waitcnt lgkmcnt(0)
	v_add_f16_e32 v12, v1, v9
	v_add_f16_sdwa v13, v9, v1 dst_sel:DWORD dst_unused:UNUSED_PAD src0_sel:WORD_1 src1_sel:WORD_1
	v_sub_f16_e32 v14, v1, v9
	v_sub_f16_sdwa v1, v1, v9 dst_sel:DWORD dst_unused:UNUSED_PAD src0_sel:WORD_1 src1_sel:WORD_1
	v_fma_f16 v9, v14, v11, v12
	v_fma_f16 v16, v13, v11, v1
	v_fma_f16 v12, -v14, v11, v12
	v_fma_f16 v1, v13, v11, -v1
	v_or_b32_e32 v11, 48, v0
	v_fma_f16 v9, -v15, v13, v9
	v_fmac_f16_e32 v16, v14, v15
	v_fmac_f16_e32 v12, v15, v13
	;; [unrolled: 1-line block ×3, first 2 shown]
	v_pack_b32_f16 v9, v9, v16
	v_pack_b32_f16 v1, v12, v1
	ds_write_b32 v10, v9 offset:160
	ds_write_b32 v8, v1 offset:256
	v_cmpx_gt_u32_e32 52, v11
	s_cbranch_execz .LBB0_19
; %bb.18:
	global_load_dword v1, v[4:5], off offset:192
	ds_read_b32 v4, v10 offset:192
	ds_read_b32 v5, v8 offset:224
	s_waitcnt lgkmcnt(0)
	v_add_f16_e32 v9, v4, v5
	v_add_f16_sdwa v11, v5, v4 dst_sel:DWORD dst_unused:UNUSED_PAD src0_sel:WORD_1 src1_sel:WORD_1
	v_sub_f16_e32 v12, v4, v5
	v_sub_f16_sdwa v4, v4, v5 dst_sel:DWORD dst_unused:UNUSED_PAD src0_sel:WORD_1 src1_sel:WORD_1
	s_waitcnt vmcnt(0)
	v_lshrrev_b32_e32 v13, 16, v1
	v_fma_f16 v5, v12, v13, v9
	v_fma_f16 v14, v11, v13, v4
	v_fma_f16 v9, -v12, v13, v9
	v_fma_f16 v4, v11, v13, -v4
	v_fma_f16 v5, -v1, v11, v5
	v_fmac_f16_e32 v14, v12, v1
	v_fmac_f16_e32 v9, v1, v11
	;; [unrolled: 1-line block ×3, first 2 shown]
	v_pack_b32_f16 v1, v5, v14
	v_pack_b32_f16 v4, v9, v4
	ds_write_b32 v10, v1 offset:192
	ds_write_b32 v8, v4 offset:224
.LBB0_19:
	s_or_b32 exec_lo, exec_lo, s1
	v_add3_u32 v1, 0, v7, v6
	s_waitcnt lgkmcnt(0)
	s_barrier
	buffer_gl0_inv
	s_barrier
	buffer_gl0_inv
	ds_read_b32 v5, v10
	ds_read2_b32 v[6:7], v1 offset0:8 offset1:16
	ds_read2_b32 v[16:17], v1 offset0:88 offset1:96
	;; [unrolled: 1-line block ×6, first 2 shown]
	v_mov_b32_e32 v4, 0xb770
	v_mov_b32_e32 v28, 0xb94e
	;; [unrolled: 1-line block ×7, first 2 shown]
	v_mad_u32_u24 v11, v0, 48, v1
	s_waitcnt lgkmcnt(0)
	s_barrier
	buffer_gl0_inv
	v_cmp_gt_u32_e64 s0, 5, v0
	v_pk_add_f16 v12, v5, v6
	v_pk_add_f16 v13, v6, v17 neg_lo:[0,1] neg_hi:[0,1]
	v_pk_add_f16 v15, v17, v6
	v_pk_add_f16 v14, v16, v7
	v_pk_add_f16 v8, v7, v16 neg_lo:[0,1] neg_hi:[0,1]
	v_pk_add_f16 v6, v12, v7
	v_mul_f16_sdwa v4, v13, v4 dst_sel:DWORD dst_unused:UNUSED_PAD src0_sel:WORD_1 src1_sel:DWORD
	v_pk_mul_f16 v7, 0x3b15388b, v15
	v_lshrrev_b32_e32 v30, 16, v15
	v_mul_f16_e32 v12, 0xba95, v13
	v_pk_add_f16 v6, v6, v19
	v_mul_f16_e32 v34, 0xbb7b, v13
	v_mul_f16_sdwa v35, v13, v28 dst_sel:DWORD dst_unused:UNUSED_PAD src0_sel:WORD_1 src1_sel:DWORD
	v_mul_f16_e32 v36, 0xb94e, v13
	v_pk_fma_f16 v40, 0xba95b770, v13, v7 op_sel:[0,0,1] op_sel_hi:[1,1,0] neg_lo:[0,1,0] neg_hi:[0,1,0]
	v_pk_add_f16 v6, v6, v20
	v_pk_fma_f16 v7, 0xba95b770, v13, v7 op_sel:[0,0,1] op_sel_hi:[1,1,0]
	v_mul_f16_e32 v32, 0xbbf1, v13
	v_mul_f16_sdwa v37, v8, v29 dst_sel:DWORD dst_unused:UNUSED_PAD src0_sel:WORD_1 src1_sel:DWORD
	v_pk_mul_f16 v38, 0x388bb5ac, v14
	v_pk_add_f16 v6, v6, v21
	v_fma_f16 v39, v15, 0x3b15, -v4
	v_fmac_f16_e32 v4, 0x3b15, v15
	v_fmamk_f16 v41, v30, 0x388b, v12
	v_fma_f16 v12, v30, 0x388b, -v12
	v_pk_add_f16 v6, v6, v22
	v_fmamk_f16 v45, v30, 0xb5ac, v34
	v_fma_f16 v34, v30, 0xb5ac, -v34
	v_fma_f16 v46, v15, 0xb9fd, -v35
	v_fmamk_f16 v47, v30, 0xb9fd, v36
	v_pk_add_f16 v6, v6, v23
	v_fmac_f16_e32 v35, 0xb9fd, v15
	v_bfi_b32 v48, 0xffff, v7, v40
	v_mul_f16_sdwa v31, v13, v27 dst_sel:DWORD dst_unused:UNUSED_PAD src0_sel:WORD_1 src1_sel:DWORD
	v_fmamk_f16 v43, v30, 0x2fb7, v32
	v_pk_add_f16 v6, v6, v24
	v_fma_f16 v32, v30, 0x2fb7, -v32
	v_add_f16_e32 v4, v5, v4
	v_add_f16_sdwa v49, v5, v12 dst_sel:DWORD dst_unused:UNUSED_PAD src0_sel:WORD_1 src1_sel:DWORD
	v_mul_f16_e32 v50, 0xbb7b, v8
	v_pk_add_f16 v6, v6, v25
	v_mul_f16_sdwa v33, v13, v9 dst_sel:DWORD dst_unused:UNUSED_PAD src0_sel:WORD_1 src1_sel:DWORD
	v_fma_f16 v42, v15, 0x2fb7, -v31
	v_fmac_f16_e32 v31, 0x2fb7, v15
	v_add_f16_e32 v39, v5, v39
	v_pk_add_f16 v6, v6, v26
	v_add_f16_sdwa v41, v5, v41 dst_sel:DWORD dst_unused:UNUSED_PAD src0_sel:WORD_1 src1_sel:DWORD
	v_fma_f16 v44, v15, 0xb5ac, -v33
	v_fmac_f16_e32 v33, 0xb5ac, v15
	v_add_f16_e32 v42, v5, v42
	v_pk_add_f16 v6, v6, v16
	v_add_f16_sdwa v16, v5, v34 dst_sel:DWORD dst_unused:UNUSED_PAD src0_sel:WORD_1 src1_sel:DWORD
	v_add_f16_e32 v34, v5, v46
	v_add_f16_sdwa v46, v5, v47 dst_sel:DWORD dst_unused:UNUSED_PAD src0_sel:WORD_1 src1_sel:DWORD
	v_pk_add_f16 v47, v5, v48 op_sel:[1,0] op_sel_hi:[0,1]
	v_pk_add_f16 v12, v6, v17
	v_fma_f16 v6, v30, 0xb9fd, -v36
	v_fma_f16 v17, v14, 0x388b, -v37
	v_add_f16_e32 v30, v5, v35
	v_pk_fma_f16 v35, 0xbb7bba95, v8, v38 op_sel:[0,0,1] op_sel_hi:[1,1,0] neg_lo:[0,1,0] neg_hi:[0,1,0]
	v_pk_fma_f16 v36, 0xbb7bba95, v8, v38 op_sel:[0,0,1] op_sel_hi:[1,1,0]
	v_fmac_f16_e32 v37, 0x388b, v14
	v_mov_b32_e32 v38, 0xb3a8
	v_lshrrev_b32_e32 v48, 16, v14
	v_add_f16_e32 v31, v5, v31
	v_add_f16_e32 v17, v17, v39
	;; [unrolled: 1-line block ×3, first 2 shown]
	v_mul_f16_sdwa v37, v8, v38 dst_sel:DWORD dst_unused:UNUSED_PAD src0_sel:WORD_1 src1_sel:DWORD
	v_fmamk_f16 v51, v48, 0xb5ac, v50
	v_fma_f16 v50, v48, 0xb5ac, -v50
	v_bfi_b32 v39, 0xffff, v36, v35
	v_add_f16_sdwa v45, v5, v45 dst_sel:DWORD dst_unused:UNUSED_PAD src0_sel:WORD_1 src1_sel:DWORD
	v_fma_f16 v52, v14, 0xbbc4, -v37
	v_add_f16_e32 v41, v51, v41
	v_add_f16_e32 v49, v50, v49
	v_mul_f16_sdwa v50, v8, v53 dst_sel:DWORD dst_unused:UNUSED_PAD src0_sel:WORD_1 src1_sel:DWORD
	v_fmac_f16_e32 v37, 0xbbc4, v14
	v_mul_f16_e32 v51, 0x394e, v8
	v_add_f16_e32 v33, v5, v33
	v_pk_add_f16 v39, v39, v47
	v_mul_f16_e32 v47, 0xb3a8, v8
	v_add_f16_e32 v42, v52, v42
	v_fma_f16 v52, v14, 0xb9fd, -v50
	v_add_f16_e32 v31, v37, v31
	v_fmamk_f16 v37, v48, 0xb9fd, v51
	v_fmac_f16_e32 v50, 0xb9fd, v14
	v_add_f16_sdwa v32, v5, v32 dst_sel:DWORD dst_unused:UNUSED_PAD src0_sel:WORD_1 src1_sel:DWORD
	v_fmamk_f16 v54, v48, 0xbbc4, v47
	v_fma_f16 v47, v48, 0xbbc4, -v47
	v_mov_b32_e32 v53, 0x3bf1
	v_fma_f16 v51, v48, 0xb9fd, -v51
	v_add_f16_e32 v37, v37, v45
	v_mul_f16_e32 v45, 0x3bf1, v8
	v_add_f16_e32 v33, v50, v33
	v_pk_add_f16 v50, v26, v19
	v_pk_add_f16 v26, v19, v26 neg_lo:[0,1] neg_hi:[0,1]
	v_add_f16_sdwa v43, v5, v43 dst_sel:DWORD dst_unused:UNUSED_PAD src0_sel:WORD_1 src1_sel:DWORD
	v_add_f16_e32 v44, v5, v44
	v_add_f16_sdwa v6, v5, v6 dst_sel:DWORD dst_unused:UNUSED_PAD src0_sel:WORD_1 src1_sel:DWORD
	v_add_f16_e32 v32, v47, v32
	v_mul_f16_sdwa v47, v8, v53 dst_sel:DWORD dst_unused:UNUSED_PAD src0_sel:WORD_1 src1_sel:DWORD
	v_add_f16_e32 v16, v51, v16
	v_fmamk_f16 v51, v48, 0x2fb7, v45
	v_fma_f16 v45, v48, 0x2fb7, -v45
	v_mul_f16_sdwa v48, v26, v27 dst_sel:DWORD dst_unused:UNUSED_PAD src0_sel:WORD_1 src1_sel:DWORD
	v_add_f16_e32 v43, v54, v43
	v_add_f16_e32 v44, v52, v44
	v_fma_f16 v52, v14, 0x2fb7, -v47
	v_fmac_f16_e32 v47, 0x2fb7, v14
	v_pk_mul_f16 v19, 0x2fb7bbc4, v50
	v_add_f16_e32 v46, v51, v46
	v_add_f16_e32 v6, v45, v6
	v_fma_f16 v45, v50, 0x2fb7, -v48
	v_fmac_f16_e32 v48, 0x2fb7, v50
	v_mov_b32_e32 v51, 0x3b7b
	v_lshrrev_b32_e32 v53, 16, v50
	v_mul_f16_e32 v54, 0xb3a8, v26
	v_add_f16_e32 v30, v47, v30
	v_pk_fma_f16 v47, 0xb3a8bbf1, v26, v19 op_sel:[0,0,1] op_sel_hi:[1,1,0] neg_lo:[0,1,0] neg_hi:[0,1,0]
	v_pk_fma_f16 v19, 0xb3a8bbf1, v26, v19 op_sel:[0,0,1] op_sel_hi:[1,1,0]
	v_add_f16_e32 v17, v45, v17
	v_mul_f16_sdwa v45, v26, v51 dst_sel:DWORD dst_unused:UNUSED_PAD src0_sel:WORD_1 src1_sel:DWORD
	v_add_f16_e32 v4, v48, v4
	v_fmamk_f16 v48, v53, 0xbbc4, v54
	v_fma_f16 v51, v53, 0xbbc4, -v54
	v_mul_f16_e32 v54, 0x3b7b, v26
	v_add_f16_e32 v34, v52, v34
	v_bfi_b32 v52, 0xffff, v19, v47
	v_add_f16_e32 v41, v48, v41
	v_add_f16_e32 v48, v51, v49
	v_fmamk_f16 v49, v53, 0xb5ac, v54
	v_mul_f16_sdwa v51, v26, v55 dst_sel:DWORD dst_unused:UNUSED_PAD src0_sel:WORD_1 src1_sel:DWORD
	v_pk_add_f16 v39, v52, v39
	v_fma_f16 v52, v50, 0xb5ac, -v45
	v_fmac_f16_e32 v45, 0xb5ac, v50
	v_add_f16_e32 v43, v49, v43
	v_fma_f16 v49, v50, 0x3b15, -v51
	v_fmac_f16_e32 v51, 0x3b15, v50
	v_add_f16_e32 v42, v52, v42
	v_mul_f16_e32 v52, 0x3770, v26
	v_fma_f16 v54, v53, 0xb5ac, -v54
	v_add_f16_e32 v44, v49, v44
	v_add_f16_e32 v33, v51, v33
	v_pk_add_f16 v51, v20, v25 neg_lo:[0,1] neg_hi:[0,1]
	v_fmamk_f16 v56, v53, 0x3b15, v52
	v_fma_f16 v49, v53, 0x3b15, -v52
	v_mul_f16_e32 v52, 0xba95, v26
	v_pk_add_f16 v25, v25, v20
	v_mul_f16_sdwa v20, v51, v9 dst_sel:DWORD dst_unused:UNUSED_PAD src0_sel:WORD_1 src1_sel:DWORD
	v_add_f16_e32 v31, v45, v31
	v_mul_f16_sdwa v45, v26, v29 dst_sel:DWORD dst_unused:UNUSED_PAD src0_sel:WORD_1 src1_sel:DWORD
	v_add_f16_e32 v16, v49, v16
	v_fmamk_f16 v49, v53, 0x388b, v52
	v_fma_f16 v52, v53, 0x388b, -v52
	v_fma_f16 v53, v25, 0xb5ac, -v20
	v_add_f16_e32 v32, v54, v32
	v_fma_f16 v54, v50, 0x388b, -v45
	v_fmac_f16_e32 v45, 0x388b, v50
	v_add_f16_e32 v46, v49, v46
	v_pk_mul_f16 v49, 0xb5acb9fd, v25
	v_add_f16_e32 v6, v52, v6
	v_add_f16_e32 v17, v53, v17
	v_fmac_f16_e32 v20, 0xb5ac, v25
	v_lshrrev_b32_e32 v52, 16, v25
	v_mul_f16_e32 v53, 0x394e, v51
	v_add_f16_e32 v34, v54, v34
	v_add_f16_e32 v30, v45, v30
	v_pk_fma_f16 v45, 0x394ebb7b, v51, v49 op_sel:[0,0,1] op_sel_hi:[1,1,0] neg_lo:[0,1,0] neg_hi:[0,1,0]
	v_pk_fma_f16 v49, 0x394ebb7b, v51, v49 op_sel:[0,0,1] op_sel_hi:[1,1,0]
	v_add_f16_e32 v4, v20, v4
	v_mul_f16_sdwa v20, v51, v55 dst_sel:DWORD dst_unused:UNUSED_PAD src0_sel:WORD_1 src1_sel:DWORD
	v_mul_f16_e32 v54, 0x3770, v51
	v_fmamk_f16 v57, v52, 0xb9fd, v53
	v_fma_f16 v53, v52, 0xb9fd, -v53
	v_add_f16_e32 v37, v56, v37
	v_bfi_b32 v56, 0xffff, v49, v45
	v_fma_f16 v58, v25, 0x3b15, -v20
	v_fmamk_f16 v59, v52, 0x3b15, v54
	v_add_f16_e32 v48, v53, v48
	v_mul_f16_sdwa v27, v51, v27 dst_sel:DWORD dst_unused:UNUSED_PAD src0_sel:WORD_1 src1_sel:DWORD
	v_fmac_f16_e32 v20, 0x3b15, v25
	v_fma_f16 v53, v52, 0x3b15, -v54
	v_mov_b32_e32 v54, 0x33a8
	v_pk_add_f16 v39, v56, v39
	v_add_f16_e32 v41, v57, v41
	v_mul_f16_e32 v56, 0xbbf1, v51
	v_fma_f16 v57, v25, 0x2fb7, -v27
	v_add_f16_e32 v20, v20, v31
	v_add_f16_e32 v31, v53, v32
	v_mul_f16_sdwa v32, v51, v54 dst_sel:DWORD dst_unused:UNUSED_PAD src0_sel:WORD_1 src1_sel:DWORD
	v_fmamk_f16 v53, v52, 0x2fb7, v56
	v_add_f16_e32 v44, v57, v44
	v_fmac_f16_e32 v27, 0x2fb7, v25
	v_fma_f16 v56, v52, 0x2fb7, -v56
	v_fma_f16 v57, v25, 0xbbc4, -v32
	v_add_f16_e32 v37, v53, v37
	v_mul_f16_e32 v53, 0x33a8, v51
	v_add_f16_e32 v27, v27, v33
	v_add_f16_e32 v16, v56, v16
	;; [unrolled: 1-line block ×3, first 2 shown]
	v_pk_add_f16 v34, v21, v24 neg_lo:[0,1] neg_hi:[0,1]
	v_pk_add_f16 v24, v24, v21
	v_fmamk_f16 v56, v52, 0xbbc4, v53
	v_fmac_f16_e32 v32, 0xbbc4, v25
	v_fma_f16 v21, v52, 0xbbc4, -v53
	v_mul_f16_sdwa v52, v34, v28 dst_sel:DWORD dst_unused:UNUSED_PAD src0_sel:WORD_1 src1_sel:DWORD
	v_pk_mul_f16 v53, 0xb9fd2fb7, v24
	v_add_f16_e32 v46, v56, v46
	v_add_f16_e32 v30, v32, v30
	;; [unrolled: 1-line block ×3, first 2 shown]
	v_fma_f16 v21, v24, 0xb9fd, -v52
	v_fmac_f16_e32 v52, 0xb9fd, v24
	v_pk_fma_f16 v32, 0x3bf1b94e, v34, v53 op_sel:[0,0,1] op_sel_hi:[1,1,0] neg_lo:[0,1,0] neg_hi:[0,1,0]
	v_pk_fma_f16 v53, 0x3bf1b94e, v34, v53 op_sel:[0,0,1] op_sel_hi:[1,1,0]
	v_lshrrev_b32_e32 v56, 16, v24
	v_mul_f16_e32 v57, 0x3bf1, v34
	v_add_f16_e32 v42, v58, v42
	v_add_f16_e32 v17, v21, v17
	;; [unrolled: 1-line block ×3, first 2 shown]
	v_mul_f16_sdwa v21, v34, v29 dst_sel:DWORD dst_unused:UNUSED_PAD src0_sel:WORD_1 src1_sel:DWORD
	v_bfi_b32 v29, 0xffff, v53, v32
	v_fmamk_f16 v52, v56, 0x2fb7, v57
	v_fma_f16 v57, v56, 0x2fb7, -v57
	v_mul_f16_e32 v58, 0xba95, v34
	v_add_f16_e32 v43, v59, v43
	v_fma_f16 v59, v24, 0x388b, -v21
	v_pk_add_f16 v29, v29, v39
	v_add_f16_e32 v39, v52, v41
	v_add_f16_e32 v41, v57, v48
	v_fmamk_f16 v48, v56, 0x388b, v58
	v_fmac_f16_e32 v21, 0x388b, v24
	v_mul_f16_sdwa v52, v34, v54 dst_sel:DWORD dst_unused:UNUSED_PAD src0_sel:WORD_1 src1_sel:DWORD
	v_fma_f16 v54, v56, 0x388b, -v58
	v_add_f16_sdwa v7, v5, v7 dst_sel:DWORD dst_unused:UNUSED_PAD src0_sel:DWORD src1_sel:WORD_1
	v_add_f16_e32 v43, v48, v43
	v_mul_f16_e32 v48, 0x33a8, v34
	v_add_f16_e32 v21, v21, v20
	v_mul_f16_sdwa v20, v34, v55 dst_sel:DWORD dst_unused:UNUSED_PAD src0_sel:WORD_1 src1_sel:DWORD
	v_add_f16_e32 v31, v54, v31
	v_add_f16_sdwa v7, v36, v7 dst_sel:DWORD dst_unused:UNUSED_PAD src0_sel:WORD_1 src1_sel:DWORD
	v_fmamk_f16 v54, v56, 0xbbc4, v48
	v_fma_f16 v48, v56, 0xbbc4, -v48
	v_fma_f16 v55, v24, 0x3b15, -v20
	v_fmac_f16_e32 v20, 0x3b15, v24
	v_add_f16_sdwa v7, v19, v7 dst_sel:DWORD dst_unused:UNUSED_PAD src0_sel:WORD_1 src1_sel:DWORD
	v_add_f16_e32 v37, v54, v37
	v_add_f16_e32 v16, v48, v16
	;; [unrolled: 1-line block ×3, first 2 shown]
	v_pk_add_f16 v48, v22, v23 neg_lo:[0,1] neg_hi:[0,1]
	v_pk_add_f16 v55, v23, v22
	v_add_f16_sdwa v22, v5, v40 dst_sel:DWORD dst_unused:UNUSED_PAD src0_sel:WORD_1 src1_sel:DWORD
	v_mul_f16_e32 v54, 0x3770, v34
	v_add_f16_e32 v30, v20, v30
	v_mul_f16_sdwa v23, v48, v38 dst_sel:DWORD dst_unused:UNUSED_PAD src0_sel:WORD_1 src1_sel:DWORD
	v_lshrrev_b32_e32 v36, 16, v55
	v_add_f16_e32 v20, v35, v22
	v_fma_f16 v38, v56, 0x3b15, -v54
	v_add_f16_e32 v42, v59, v42
	v_fma_f16 v22, v55, 0xbbc4, -v23
	v_fmac_f16_e32 v23, 0xbbc4, v55
	v_add_f16_e32 v20, v47, v20
	v_add_f16_e32 v35, v38, v6
	v_pk_mul_f16 v6, 0xbbc43b15, v55
	v_add_f16_e32 v17, v22, v17
	v_mul_f16_e32 v38, 0x3770, v48
	v_add_f16_e32 v20, v45, v20
	v_add_f16_e32 v4, v23, v4
	v_pk_fma_f16 v22, 0x3770b3a8, v48, v6 op_sel:[0,0,1] op_sel_hi:[1,1,0] neg_lo:[0,1,0] neg_hi:[0,1,0]
	v_pk_fma_f16 v6, 0x3770b3a8, v48, v6 op_sel:[0,0,1] op_sel_hi:[1,1,0]
	v_fmamk_f16 v23, v36, 0x3b15, v38
	v_add_f16_e32 v19, v32, v20
	v_add_f16_sdwa v7, v49, v7 dst_sel:DWORD dst_unused:UNUSED_PAD src0_sel:WORD_1 src1_sel:DWORD
	v_mov_b32_e32 v32, 0x3a95
	v_bfi_b32 v20, 0xffff, v6, v22
	v_fma_f16 v57, v24, 0xbbc4, -v52
	v_add_f16_e32 v19, v22, v19
	v_mul_f16_sdwa v22, v48, v28 dst_sel:DWORD dst_unused:UNUSED_PAD src0_sel:WORD_1 src1_sel:DWORD
	v_fmac_f16_e32 v52, 0xbbc4, v24
	v_pk_add_f16 v28, v20, v29
	v_add_f16_e32 v29, v23, v39
	v_add_f16_sdwa v7, v53, v7 dst_sel:DWORD dst_unused:UNUSED_PAD src0_sel:WORD_1 src1_sel:DWORD
	v_fma_f16 v23, v55, 0xb9fd, -v22
	v_fma_f16 v20, v36, 0x3b15, -v38
	v_mul_f16_e32 v38, 0xb94e, v48
	v_add_f16_e32 v27, v52, v27
	v_add_f16_sdwa v7, v6, v7 dst_sel:DWORD dst_unused:UNUSED_PAD src0_sel:WORD_1 src1_sel:DWORD
	v_add_f16_e32 v39, v23, v42
	v_mul_f16_sdwa v23, v48, v32 dst_sel:DWORD dst_unused:UNUSED_PAD src0_sel:WORD_1 src1_sel:DWORD
	v_add_f16_e32 v20, v20, v41
	v_fmamk_f16 v6, v36, 0xb9fd, v38
	v_fmac_f16_e32 v22, 0xb9fd, v55
	v_fma_f16 v32, v36, 0xb9fd, -v38
	v_mul_f16_e32 v38, 0x3a95, v48
	v_fma_f16 v41, v55, 0x388b, -v23
	v_fmac_f16_e32 v23, 0x388b, v55
	v_pk_mul_f16 v15, 0xbbc4, v15 op_sel_hi:[0,1]
	v_add_f16_e32 v42, v6, v43
	v_add_f16_e32 v6, v22, v21
	;; [unrolled: 1-line block ×3, first 2 shown]
	v_fmamk_f16 v22, v36, 0x388b, v38
	v_fma_f16 v32, v36, 0x388b, -v38
	v_mul_f16_sdwa v38, v48, v9 dst_sel:DWORD dst_unused:UNUSED_PAD src0_sel:WORD_1 src1_sel:DWORD
	v_add_f16_e32 v9, v23, v27
	v_pk_fma_f16 v27, 0xb3a8, v13, v15 op_sel:[0,0,1] op_sel_hi:[0,1,0] neg_lo:[0,1,0] neg_hi:[0,1,0]
	v_pk_fma_f16 v13, 0xb3a8, v13, v15 op_sel:[0,0,1] op_sel_hi:[0,1,0]
	v_pk_mul_f16 v14, 0x3b15, v14 op_sel_hi:[0,1]
	v_pk_mul_f16 v25, 0x388b, v25 op_sel_hi:[0,1]
	;; [unrolled: 1-line block ×3, first 2 shown]
	v_pk_add_f16 v27, v5, v27 op_sel:[1,0] op_sel_hi:[0,1]
	v_pk_add_f16 v5, v5, v13 op_sel:[1,0] op_sel_hi:[0,1]
	v_pk_fma_f16 v13, 0x3770, v8, v14 op_sel:[0,0,1] op_sel_hi:[0,1,0] neg_lo:[0,1,0] neg_hi:[0,1,0]
	v_pk_fma_f16 v8, 0x3770, v8, v14 op_sel:[0,0,1] op_sel_hi:[0,1,0]
	v_pk_mul_f16 v14, 0xb9fd, v50 op_sel_hi:[0,1]
	v_fmamk_f16 v52, v56, 0x3b15, v54
	v_add_f16_e32 v37, v22, v37
	v_pk_add_f16 v13, v13, v27
	v_pk_add_f16 v5, v8, v5
	v_pk_fma_f16 v27, 0xb94e, v26, v14 op_sel:[0,0,1] op_sel_hi:[0,1,0] neg_lo:[0,1,0] neg_hi:[0,1,0]
	v_pk_fma_f16 v14, 0xb94e, v26, v14 op_sel:[0,0,1] op_sel_hi:[0,1,0]
	v_add_f16_e32 v23, v32, v16
	v_fma_f16 v16, v55, 0xb5ac, -v38
	v_mul_f16_e32 v22, 0xbb7b, v48
	v_pk_add_f16 v13, v27, v13
	v_pk_add_f16 v5, v14, v5
	v_pk_fma_f16 v14, 0x3a95, v51, v25 op_sel:[0,0,1] op_sel_hi:[0,1,0] neg_lo:[0,1,0] neg_hi:[0,1,0]
	v_pk_fma_f16 v25, 0x3a95, v51, v25 op_sel:[0,0,1] op_sel_hi:[0,1,0]
	v_add_f16_e32 v44, v57, v44
	v_add_f16_e32 v40, v52, v46
	;; [unrolled: 1-line block ×3, first 2 shown]
	v_pk_add_f16 v13, v14, v13
	v_pk_add_f16 v5, v25, v5
	v_pk_fma_f16 v14, 0xbb7b, v34, v24 op_sel:[0,0,1] op_sel_hi:[0,1,0] neg_lo:[0,1,0] neg_hi:[0,1,0]
	v_pk_fma_f16 v24, 0xbb7b, v34, v24 op_sel:[0,0,1] op_sel_hi:[0,1,0]
	v_pk_mul_f16 v25, 0x2fb7, v55 op_sel_hi:[0,1]
	v_fmamk_f16 v16, v36, 0xb5ac, v22
	v_fmac_f16_e32 v38, 0xb5ac, v55
	v_pk_add_f16 v13, v14, v13
	v_pk_add_f16 v5, v24, v5
	v_pk_fma_f16 v14, 0x3bf1, v48, v25 op_sel:[0,0,1] op_sel_hi:[0,1,0] neg_lo:[0,1,0] neg_hi:[0,1,0]
	v_pk_fma_f16 v24, 0x3bf1, v48, v25 op_sel:[0,0,1] op_sel_hi:[0,1,0]
	v_fma_f16 v22, v36, 0xb5ac, -v22
	v_add_f16_e32 v31, v41, v44
	v_add_f16_e32 v16, v16, v40
	v_pk_add_f16 v13, v14, v13
	v_pk_add_f16 v5, v24, v5
	v_add_f16_e32 v8, v38, v30
	v_add_f16_e32 v22, v22, v35
	v_alignbit_b32 v26, v29, v28, 16
	v_pack_b32_f16 v17, v17, v28
	v_pack_b32_f16 v25, v31, v37
	;; [unrolled: 1-line block ×4, first 2 shown]
	v_alignbit_b32 v15, v13, v5, 16
	v_alignbit_b32 v5, v5, v13, 16
	v_pack_b32_f16 v13, v9, v23
	v_pack_b32_f16 v16, v8, v22
	ds_write2_b32 v11, v17, v26 offset0:1 offset1:2
	ds_write2_b32 v11, v27, v25 offset0:3 offset1:4
	v_pack_b32_f16 v17, v7, v20
	v_pack_b32_f16 v24, v6, v21
	;; [unrolled: 1-line block ×3, first 2 shown]
	ds_write2_b32 v11, v12, v14 offset1:5
	ds_write2_b32 v11, v5, v15 offset0:6 offset1:7
	ds_write2_b32 v11, v16, v13 offset0:8 offset1:9
	;; [unrolled: 1-line block ×3, first 2 shown]
	ds_write_b32 v11, v25 offset:48
	s_waitcnt lgkmcnt(0)
	s_barrier
	buffer_gl0_inv
	ds_read2_b32 v[16:17], v1 offset0:13 offset1:26
	ds_read2_b32 v[14:15], v1 offset0:39 offset1:52
	;; [unrolled: 1-line block ×3, first 2 shown]
	ds_read_b32 v27, v10
	ds_read_b32 v28, v1 offset:364
                                        ; implicit-def: $vgpr24
                                        ; implicit-def: $vgpr25
                                        ; implicit-def: $vgpr10
                                        ; implicit-def: $vgpr26
	s_and_saveexec_b32 s1, s0
	s_cbranch_execz .LBB0_21
; %bb.20:
	ds_read2_b32 v[8:9], v1 offset0:8 offset1:21
	ds_read2_b32 v[6:7], v1 offset0:34 offset1:47
	ds_read2_b32 v[4:5], v1 offset0:60 offset1:73
	ds_read2_b32 v[10:11], v1 offset0:86 offset1:99
	s_waitcnt lgkmcnt(3)
	v_lshrrev_b32_e32 v22, 16, v8
	s_waitcnt lgkmcnt(2)
	v_lshrrev_b32_e32 v21, 16, v6
	v_lshrrev_b32_e32 v20, 16, v7
	s_waitcnt lgkmcnt(1)
	v_lshrrev_b32_e32 v19, 16, v4
	;; [unrolled: 3-line block ×3, first 2 shown]
	v_lshrrev_b32_e32 v26, 16, v11
	v_lshrrev_b32_e32 v23, 16, v9
.LBB0_21:
	s_or_b32 exec_lo, exec_lo, s1
	v_mul_u32_u24_e32 v29, 7, v0
	s_waitcnt lgkmcnt(0)
	v_lshrrev_b32_e32 v38, 16, v28
	v_lshrrev_b32_e32 v39, 16, v13
	;; [unrolled: 1-line block ×4, first 2 shown]
	v_lshlrev_b32_e32 v29, 2, v29
	v_lshrrev_b32_e32 v42, 16, v14
	v_lshrrev_b32_e32 v43, 16, v16
	;; [unrolled: 1-line block ×4, first 2 shown]
	s_clause 0x1
	global_load_dwordx4 v[30:33], v29, s[8:9]
	global_load_dwordx3 v[34:36], v29, s[8:9] offset:16
	v_or_b32_e32 v29, 8, v0
	s_waitcnt vmcnt(0)
	s_barrier
	buffer_gl0_inv
	v_cmp_gt_u32_e64 s1, 13, v29
	v_mul_f16_sdwa v45, v30, v43 dst_sel:DWORD dst_unused:UNUSED_PAD src0_sel:WORD_1 src1_sel:DWORD
	v_mul_f16_sdwa v46, v30, v16 dst_sel:DWORD dst_unused:UNUSED_PAD src0_sel:WORD_1 src1_sel:DWORD
	;; [unrolled: 1-line block ×14, first 2 shown]
	v_fma_f16 v16, v30, v16, -v45
	v_fmac_f16_e32 v46, v30, v43
	v_fma_f16 v17, v31, v17, -v47
	v_fmac_f16_e32 v48, v31, v44
	;; [unrolled: 2-line block ×7, first 2 shown]
	v_sub_f16_e32 v15, v27, v15
	v_sub_f16_e32 v30, v37, v52
	;; [unrolled: 1-line block ×8, first 2 shown]
	v_fma_f16 v27, v27, 2.0, -v15
	v_fma_f16 v34, v37, 2.0, -v30
	v_fma_f16 v17, v17, 2.0, -v13
	v_fma_f16 v35, v48, 2.0, -v31
	v_fma_f16 v16, v16, 2.0, -v12
	v_fma_f16 v36, v46, 2.0, -v32
	v_fma_f16 v14, v14, 2.0, -v28
	v_fma_f16 v37, v50, 2.0, -v33
	v_sub_f16_e32 v31, v15, v31
	v_add_f16_e32 v13, v30, v13
	v_sub_f16_e32 v33, v12, v33
	v_add_f16_e32 v28, v32, v28
	v_sub_f16_e32 v17, v27, v17
	v_sub_f16_e32 v35, v34, v35
	v_fma_f16 v15, v15, 2.0, -v31
	v_fma_f16 v30, v30, 2.0, -v13
	v_sub_f16_e32 v14, v16, v14
	v_sub_f16_e32 v37, v36, v37
	v_fma_f16 v12, v12, 2.0, -v33
	v_fma_f16 v32, v32, 2.0, -v28
	v_fmamk_f16 v38, v33, 0x39a8, v31
	v_fmamk_f16 v39, v28, 0x39a8, v13
	v_fma_f16 v27, v27, 2.0, -v17
	v_fma_f16 v34, v34, 2.0, -v35
	;; [unrolled: 1-line block ×4, first 2 shown]
	v_fmamk_f16 v40, v12, 0xb9a8, v15
	v_fmamk_f16 v41, v32, 0xb9a8, v30
	v_sub_f16_e32 v37, v17, v37
	v_add_f16_e32 v14, v35, v14
	v_fmac_f16_e32 v38, 0xb9a8, v28
	v_fmac_f16_e32 v39, 0x39a8, v33
	v_sub_f16_e32 v16, v27, v16
	v_sub_f16_e32 v28, v34, v36
	v_fmac_f16_e32 v40, 0xb9a8, v32
	v_fmac_f16_e32 v41, 0x39a8, v12
	v_fma_f16 v12, v17, 2.0, -v37
	v_fma_f16 v17, v35, 2.0, -v14
	v_fma_f16 v31, v31, 2.0, -v38
	v_fma_f16 v13, v13, 2.0, -v39
	v_fma_f16 v27, v27, 2.0, -v16
	v_fma_f16 v32, v34, 2.0, -v28
	v_fma_f16 v15, v15, 2.0, -v40
	v_fma_f16 v30, v30, 2.0, -v41
	v_pack_b32_f16 v12, v12, v17
	v_pack_b32_f16 v13, v31, v13
	;; [unrolled: 1-line block ×8, first 2 shown]
	ds_write2_b32 v1, v12, v13 offset0:26 offset1:39
	ds_write2_b32 v1, v16, v17 offset0:52 offset1:65
	ds_write2_b32 v1, v27, v15 offset1:13
	ds_write2_b32 v1, v14, v28 offset0:78 offset1:91
	s_and_saveexec_b32 s4, s0
	s_cbranch_execz .LBB0_23
; %bb.22:
	v_add_nc_u32_e32 v12, -5, v0
	v_mov_b32_e32 v13, 0
	v_cndmask_b32_e64 v12, v12, v29, s1
	v_mul_i32_i24_e32 v12, 7, v12
	v_lshlrev_b64 v[12:13], 2, v[12:13]
	v_add_co_u32 v16, s0, s8, v12
	v_add_co_ci_u32_e64 v17, s0, s9, v13, s0
	s_clause 0x1
	global_load_dwordx4 v[12:15], v[16:17], off
	global_load_dwordx3 v[27:29], v[16:17], off offset:16
	s_waitcnt vmcnt(1)
	v_mul_f16_sdwa v16, v19, v15 dst_sel:DWORD dst_unused:UNUSED_PAD src0_sel:DWORD src1_sel:WORD_1
	v_mul_f16_sdwa v17, v6, v13 dst_sel:DWORD dst_unused:UNUSED_PAD src0_sel:DWORD src1_sel:WORD_1
	s_waitcnt vmcnt(0)
	v_mul_f16_sdwa v30, v10, v28 dst_sel:DWORD dst_unused:UNUSED_PAD src0_sel:DWORD src1_sel:WORD_1
	v_mul_f16_sdwa v31, v23, v12 dst_sel:DWORD dst_unused:UNUSED_PAD src0_sel:DWORD src1_sel:WORD_1
	;; [unrolled: 1-line block ×12, first 2 shown]
	v_fma_f16 v4, v4, v15, -v16
	v_fmac_f16_e32 v17, v21, v13
	v_fmac_f16_e32 v30, v25, v28
	v_fma_f16 v9, v9, v12, -v31
	v_fma_f16 v5, v5, v27, -v32
	v_fmac_f16_e32 v33, v20, v14
	v_fmac_f16_e32 v34, v26, v29
	;; [unrolled: 1-line block ×4, first 2 shown]
	v_fma_f16 v7, v7, v14, -v37
	v_fma_f16 v11, v11, v29, -v38
	v_fmac_f16_e32 v39, v19, v15
	v_fma_f16 v6, v6, v13, -v40
	v_fma_f16 v10, v10, v28, -v41
	v_sub_f16_e32 v4, v8, v4
	v_sub_f16_e32 v12, v17, v30
	;; [unrolled: 1-line block ×10, first 2 shown]
	v_add_f16_e32 v20, v14, v11
	v_fma_f16 v8, v8, 2.0, -v4
	v_add_f16_e32 v21, v15, v10
	v_fma_f16 v6, v6, 2.0, -v10
	v_fma_f16 v10, v35, 2.0, -v14
	;; [unrolled: 1-line block ×7, first 2 shown]
	v_fmamk_f16 v11, v19, 0x39a8, v16
	v_sub_f16_e32 v6, v8, v6
	v_sub_f16_e32 v13, v10, v13
	;; [unrolled: 1-line block ×4, first 2 shown]
	v_fma_f16 v4, v4, 2.0, -v16
	v_fma_f16 v5, v5, 2.0, -v19
	;; [unrolled: 1-line block ×4, first 2 shown]
	v_fmamk_f16 v17, v20, 0x39a8, v21
	v_fmac_f16_e32 v11, 0xb9a8, v20
	v_add_f16_e32 v20, v12, v7
	v_fmamk_f16 v23, v5, 0xb9a8, v4
	v_fmamk_f16 v24, v14, 0xb9a8, v15
	v_fma_f16 v8, v8, 2.0, -v6
	v_fma_f16 v7, v9, 2.0, -v7
	;; [unrolled: 1-line block ×4, first 2 shown]
	v_fmac_f16_e32 v17, 0x39a8, v19
	v_sub_f16_e32 v19, v6, v13
	v_fmac_f16_e32 v23, 0xb9a8, v14
	v_fmac_f16_e32 v24, 0x39a8, v5
	v_sub_f16_e32 v5, v8, v7
	v_sub_f16_e32 v7, v9, v10
	v_fma_f16 v13, v16, 2.0, -v11
	v_fma_f16 v16, v21, 2.0, -v17
	;; [unrolled: 1-line block ×8, first 2 shown]
	v_pack_b32_f16 v6, v6, v10
	v_pack_b32_f16 v10, v13, v16
	v_pack_b32_f16 v5, v5, v7
	v_pack_b32_f16 v7, v23, v24
	v_pack_b32_f16 v8, v8, v9
	v_pack_b32_f16 v4, v4, v14
	v_pack_b32_f16 v12, v19, v20
	v_pack_b32_f16 v9, v11, v17
	ds_write2_b32 v1, v6, v10 offset0:34 offset1:47
	ds_write2_b32 v1, v5, v7 offset0:60 offset1:73
	;; [unrolled: 1-line block ×4, first 2 shown]
.LBB0_23:
	s_or_b32 exec_lo, exec_lo, s4
	s_waitcnt lgkmcnt(0)
	s_barrier
	buffer_gl0_inv
	s_and_saveexec_b32 s0, vcc_lo
	s_cbranch_execz .LBB0_25
; %bb.24:
	v_lshl_add_u32 v18, v0, 2, v18
	v_mov_b32_e32 v1, 0
	v_add_nc_u32_e32 v4, 8, v0
	v_add_co_u32 v19, vcc_lo, s2, v2
	ds_read2_b32 v[6:7], v18 offset1:8
	v_mov_b32_e32 v5, v1
	ds_read2_b32 v[10:11], v18 offset0:16 offset1:24
	v_add_co_ci_u32_e32 v20, vcc_lo, s3, v3, vcc_lo
	v_lshlrev_b64 v[2:3], 2, v[0:1]
	v_add_nc_u32_e32 v8, 16, v0
	v_mov_b32_e32 v9, v1
	v_lshlrev_b64 v[4:5], 2, v[4:5]
	v_add_nc_u32_e32 v12, 24, v0
	v_mov_b32_e32 v13, v1
	v_add_co_u32 v2, vcc_lo, v19, v2
	v_lshlrev_b64 v[8:9], 2, v[8:9]
	v_add_co_ci_u32_e32 v3, vcc_lo, v20, v3, vcc_lo
	v_add_co_u32 v4, vcc_lo, v19, v4
	ds_read2_b32 v[16:17], v18 offset0:32 offset1:40
	v_add_co_ci_u32_e32 v5, vcc_lo, v20, v5, vcc_lo
	v_add_co_u32 v8, vcc_lo, v19, v8
	v_add_nc_u32_e32 v14, 32, v0
	v_mov_b32_e32 v15, v1
	v_add_co_ci_u32_e32 v9, vcc_lo, v20, v9, vcc_lo
	v_lshlrev_b64 v[12:13], 2, v[12:13]
	s_waitcnt lgkmcnt(2)
	global_store_dword v[2:3], v6, off
	global_store_dword v[4:5], v7, off
	s_waitcnt lgkmcnt(1)
	global_store_dword v[8:9], v10, off
	v_lshlrev_b64 v[2:3], 2, v[14:15]
	v_add_nc_u32_e32 v6, 40, v0
	v_mov_b32_e32 v7, v1
	v_add_nc_u32_e32 v8, 48, v0
	v_add_co_u32 v4, vcc_lo, v19, v12
	v_add_co_ci_u32_e32 v5, vcc_lo, v20, v13, vcc_lo
	v_add_co_u32 v2, vcc_lo, v19, v2
	v_add_co_ci_u32_e32 v3, vcc_lo, v20, v3, vcc_lo
	v_mov_b32_e32 v9, v1
	global_store_dword v[4:5], v11, off
	s_waitcnt lgkmcnt(0)
	global_store_dword v[2:3], v16, off
	ds_read2_b32 v[4:5], v18 offset0:48 offset1:56
	v_lshlrev_b64 v[2:3], 2, v[6:7]
	v_lshlrev_b64 v[6:7], 2, v[8:9]
	v_add_nc_u32_e32 v8, 56, v0
	v_add_nc_u32_e32 v10, 64, v0
	v_mov_b32_e32 v11, v1
	v_add_nc_u32_e32 v12, 0x58, v0
	v_add_co_u32 v2, vcc_lo, v19, v2
	v_lshlrev_b64 v[8:9], 2, v[8:9]
	v_add_co_ci_u32_e32 v3, vcc_lo, v20, v3, vcc_lo
	v_add_co_u32 v6, vcc_lo, v19, v6
	v_add_co_ci_u32_e32 v7, vcc_lo, v20, v7, vcc_lo
	v_add_co_u32 v8, vcc_lo, v19, v8
	v_add_co_ci_u32_e32 v9, vcc_lo, v20, v9, vcc_lo
	global_store_dword v[2:3], v17, off
	s_waitcnt lgkmcnt(0)
	global_store_dword v[6:7], v4, off
	global_store_dword v[8:9], v5, off
	v_add_nc_u32_e32 v6, 0x48, v0
	v_mov_b32_e32 v7, v1
	v_lshlrev_b64 v[4:5], 2, v[10:11]
	ds_read2_b32 v[2:3], v18 offset0:64 offset1:72
	v_add_nc_u32_e32 v8, 0x50, v0
	v_mov_b32_e32 v9, v1
	v_lshlrev_b64 v[6:7], 2, v[6:7]
	ds_read2_b32 v[10:11], v18 offset0:80 offset1:88
	v_mov_b32_e32 v13, v1
	ds_read_b32 v14, v18 offset:384
	v_add_co_u32 v4, vcc_lo, v19, v4
	v_lshlrev_b64 v[8:9], 2, v[8:9]
	v_add_nc_u32_e32 v0, 0x60, v0
	v_add_co_ci_u32_e32 v5, vcc_lo, v20, v5, vcc_lo
	v_add_co_u32 v6, vcc_lo, v19, v6
	v_lshlrev_b64 v[12:13], 2, v[12:13]
	v_add_co_ci_u32_e32 v7, vcc_lo, v20, v7, vcc_lo
	v_add_co_u32 v8, vcc_lo, v19, v8
	v_lshlrev_b64 v[0:1], 2, v[0:1]
	v_add_co_ci_u32_e32 v9, vcc_lo, v20, v9, vcc_lo
	v_add_co_u32 v12, vcc_lo, v19, v12
	v_add_co_ci_u32_e32 v13, vcc_lo, v20, v13, vcc_lo
	v_add_co_u32 v0, vcc_lo, v19, v0
	v_add_co_ci_u32_e32 v1, vcc_lo, v20, v1, vcc_lo
	s_waitcnt lgkmcnt(2)
	global_store_dword v[4:5], v2, off
	global_store_dword v[6:7], v3, off
	s_waitcnt lgkmcnt(1)
	global_store_dword v[8:9], v10, off
	global_store_dword v[12:13], v11, off
	s_waitcnt lgkmcnt(0)
	global_store_dword v[0:1], v14, off
.LBB0_25:
	s_endpgm
	.section	.rodata,"a",@progbits
	.p2align	6, 0x0
	.amdhsa_kernel fft_rtc_fwd_len104_factors_13_8_wgs_64_tpt_8_halfLds_half_ip_CI_unitstride_sbrr_C2R_dirReg
		.amdhsa_group_segment_fixed_size 0
		.amdhsa_private_segment_fixed_size 0
		.amdhsa_kernarg_size 88
		.amdhsa_user_sgpr_count 6
		.amdhsa_user_sgpr_private_segment_buffer 1
		.amdhsa_user_sgpr_dispatch_ptr 0
		.amdhsa_user_sgpr_queue_ptr 0
		.amdhsa_user_sgpr_kernarg_segment_ptr 1
		.amdhsa_user_sgpr_dispatch_id 0
		.amdhsa_user_sgpr_flat_scratch_init 0
		.amdhsa_user_sgpr_private_segment_size 0
		.amdhsa_wavefront_size32 1
		.amdhsa_uses_dynamic_stack 0
		.amdhsa_system_sgpr_private_segment_wavefront_offset 0
		.amdhsa_system_sgpr_workgroup_id_x 1
		.amdhsa_system_sgpr_workgroup_id_y 0
		.amdhsa_system_sgpr_workgroup_id_z 0
		.amdhsa_system_sgpr_workgroup_info 0
		.amdhsa_system_vgpr_workitem_id 0
		.amdhsa_next_free_vgpr 60
		.amdhsa_next_free_sgpr 21
		.amdhsa_reserve_vcc 1
		.amdhsa_reserve_flat_scratch 0
		.amdhsa_float_round_mode_32 0
		.amdhsa_float_round_mode_16_64 0
		.amdhsa_float_denorm_mode_32 3
		.amdhsa_float_denorm_mode_16_64 3
		.amdhsa_dx10_clamp 1
		.amdhsa_ieee_mode 1
		.amdhsa_fp16_overflow 0
		.amdhsa_workgroup_processor_mode 1
		.amdhsa_memory_ordered 1
		.amdhsa_forward_progress 0
		.amdhsa_shared_vgpr_count 0
		.amdhsa_exception_fp_ieee_invalid_op 0
		.amdhsa_exception_fp_denorm_src 0
		.amdhsa_exception_fp_ieee_div_zero 0
		.amdhsa_exception_fp_ieee_overflow 0
		.amdhsa_exception_fp_ieee_underflow 0
		.amdhsa_exception_fp_ieee_inexact 0
		.amdhsa_exception_int_div_zero 0
	.end_amdhsa_kernel
	.text
.Lfunc_end0:
	.size	fft_rtc_fwd_len104_factors_13_8_wgs_64_tpt_8_halfLds_half_ip_CI_unitstride_sbrr_C2R_dirReg, .Lfunc_end0-fft_rtc_fwd_len104_factors_13_8_wgs_64_tpt_8_halfLds_half_ip_CI_unitstride_sbrr_C2R_dirReg
                                        ; -- End function
	.section	.AMDGPU.csdata,"",@progbits
; Kernel info:
; codeLenInByte = 7884
; NumSgprs: 23
; NumVgprs: 60
; ScratchSize: 0
; MemoryBound: 0
; FloatMode: 240
; IeeeMode: 1
; LDSByteSize: 0 bytes/workgroup (compile time only)
; SGPRBlocks: 2
; VGPRBlocks: 7
; NumSGPRsForWavesPerEU: 23
; NumVGPRsForWavesPerEU: 60
; Occupancy: 16
; WaveLimiterHint : 1
; COMPUTE_PGM_RSRC2:SCRATCH_EN: 0
; COMPUTE_PGM_RSRC2:USER_SGPR: 6
; COMPUTE_PGM_RSRC2:TRAP_HANDLER: 0
; COMPUTE_PGM_RSRC2:TGID_X_EN: 1
; COMPUTE_PGM_RSRC2:TGID_Y_EN: 0
; COMPUTE_PGM_RSRC2:TGID_Z_EN: 0
; COMPUTE_PGM_RSRC2:TIDIG_COMP_CNT: 0
	.text
	.p2alignl 6, 3214868480
	.fill 48, 4, 3214868480
	.type	__hip_cuid_600fd1a4f9f34fda,@object ; @__hip_cuid_600fd1a4f9f34fda
	.section	.bss,"aw",@nobits
	.globl	__hip_cuid_600fd1a4f9f34fda
__hip_cuid_600fd1a4f9f34fda:
	.byte	0                               ; 0x0
	.size	__hip_cuid_600fd1a4f9f34fda, 1

	.ident	"AMD clang version 19.0.0git (https://github.com/RadeonOpenCompute/llvm-project roc-6.4.0 25133 c7fe45cf4b819c5991fe208aaa96edf142730f1d)"
	.section	".note.GNU-stack","",@progbits
	.addrsig
	.addrsig_sym __hip_cuid_600fd1a4f9f34fda
	.amdgpu_metadata
---
amdhsa.kernels:
  - .args:
      - .actual_access:  read_only
        .address_space:  global
        .offset:         0
        .size:           8
        .value_kind:     global_buffer
      - .offset:         8
        .size:           8
        .value_kind:     by_value
      - .actual_access:  read_only
        .address_space:  global
        .offset:         16
        .size:           8
        .value_kind:     global_buffer
      - .actual_access:  read_only
        .address_space:  global
        .offset:         24
        .size:           8
        .value_kind:     global_buffer
      - .offset:         32
        .size:           8
        .value_kind:     by_value
      - .actual_access:  read_only
        .address_space:  global
        .offset:         40
        .size:           8
        .value_kind:     global_buffer
      - .actual_access:  read_only
        .address_space:  global
        .offset:         48
        .size:           8
        .value_kind:     global_buffer
      - .offset:         56
        .size:           4
        .value_kind:     by_value
      - .actual_access:  read_only
        .address_space:  global
        .offset:         64
        .size:           8
        .value_kind:     global_buffer
      - .actual_access:  read_only
        .address_space:  global
        .offset:         72
        .size:           8
        .value_kind:     global_buffer
      - .address_space:  global
        .offset:         80
        .size:           8
        .value_kind:     global_buffer
    .group_segment_fixed_size: 0
    .kernarg_segment_align: 8
    .kernarg_segment_size: 88
    .language:       OpenCL C
    .language_version:
      - 2
      - 0
    .max_flat_workgroup_size: 64
    .name:           fft_rtc_fwd_len104_factors_13_8_wgs_64_tpt_8_halfLds_half_ip_CI_unitstride_sbrr_C2R_dirReg
    .private_segment_fixed_size: 0
    .sgpr_count:     23
    .sgpr_spill_count: 0
    .symbol:         fft_rtc_fwd_len104_factors_13_8_wgs_64_tpt_8_halfLds_half_ip_CI_unitstride_sbrr_C2R_dirReg.kd
    .uniform_work_group_size: 1
    .uses_dynamic_stack: false
    .vgpr_count:     60
    .vgpr_spill_count: 0
    .wavefront_size: 32
    .workgroup_processor_mode: 1
amdhsa.target:   amdgcn-amd-amdhsa--gfx1030
amdhsa.version:
  - 1
  - 2
...

	.end_amdgpu_metadata
